;; amdgpu-corpus repo=zjin-lcf/HeCBench kind=compiled arch=gfx1100 opt=O3
	.text
	.amdgcn_target "amdgcn-amd-amdhsa--gfx1100"
	.amdhsa_code_object_version 6
	.section	.text._Z8findTopKIfLi2048ELi256ELi64EEvPiS0_PKT_fimm,"axG",@progbits,_Z8findTopKIfLi2048ELi256ELi64EEvPiS0_PKT_fimm,comdat
	.protected	_Z8findTopKIfLi2048ELi256ELi64EEvPiS0_PKT_fimm ; -- Begin function _Z8findTopKIfLi2048ELi256ELi64EEvPiS0_PKT_fimm
	.globl	_Z8findTopKIfLi2048ELi256ELi64EEvPiS0_PKT_fimm
	.p2align	8
	.type	_Z8findTopKIfLi2048ELi256ELi64EEvPiS0_PKT_fimm,@function
_Z8findTopKIfLi2048ELi256ELi64EEvPiS0_PKT_fimm: ; @_Z8findTopKIfLi2048ELi256ELi64EEvPiS0_PKT_fimm
; %bb.0:
	s_clause 0x1
	s_load_b256 s[16:23], s[0:1], 0x10
	s_load_b128 s[8:11], s[0:1], 0x0
	v_dual_mov_b32 v1, 0 :: v_dual_lshlrev_b32 v8, 2, v0
	s_mov_b32 s2, s15
	v_lshlrev_b32_e32 v7, 2, v0
	s_mov_b32 s15, 0
	ds_store_2addr_stride64_b32 v8, v1, v1 offset1:4
	ds_store_2addr_stride64_b32 v8, v1, v1 offset0:8 offset1:12
	ds_store_2addr_stride64_b32 v8, v1, v1 offset0:16 offset1:20
	;; [unrolled: 1-line block ×3, first 2 shown]
	s_waitcnt lgkmcnt(0)
	s_barrier
	buffer_gl0_inv
	s_mul_i32 s1, s2, s21
	s_mul_hi_u32 s3, s2, s20
	s_mul_i32 s12, s2, s20
	v_cmp_gt_u64_e64 s0, s[22:23], v[0:1]
	s_add_i32 s13, s3, s1
	v_sub_f32_e64 v6, 1.0, s18
	s_add_u32 s25, s12, s14
	s_addc_u32 s26, s13, 0
	s_mul_hi_u32 s20, s22, s25
	s_mul_i32 s21, s23, s25
	s_mul_i32 s24, s22, s26
	;; [unrolled: 1-line block ×3, first 2 shown]
	s_and_saveexec_b32 s2, s0
	s_cbranch_execz .LBB0_6
; %bb.1:
	s_add_i32 s1, s20, s24
	v_mov_b32_e32 v5, v1
	s_add_i32 s7, s1, s21
	v_dual_mov_b32 v9, 1 :: v_dual_mov_b32 v4, v0
	s_lshl_b64 s[4:5], s[6:7], 2
	s_delay_alu instid0(SALU_CYCLE_1) | instskip(SKIP_2) | instid1(VALU_DEP_1)
	s_add_u32 s1, s16, s4
	s_addc_u32 s3, s17, s5
	v_add_co_u32 v2, s1, s1, v7
	v_add_co_ci_u32_e64 v3, null, s3, 0, s1
	s_mov_b32 s3, s15
	s_branch .LBB0_3
.LBB0_2:                                ;   in Loop: Header=BB0_3 Depth=1
	s_or_b32 exec_lo, exec_lo, s1
	v_add_co_u32 v4, vcc_lo, 0x100, v4
	v_add_co_ci_u32_e32 v5, vcc_lo, 0, v5, vcc_lo
	v_add_co_u32 v2, s1, 0x400, v2
	s_delay_alu instid0(VALU_DEP_1) | instskip(NEXT) | instid1(VALU_DEP_3)
	v_add_co_ci_u32_e64 v3, s1, 0, v3, s1
	v_cmp_le_u64_e32 vcc_lo, s[22:23], v[4:5]
	s_or_b32 s3, vcc_lo, s3
	s_delay_alu instid0(SALU_CYCLE_1)
	s_and_not1_b32 exec_lo, exec_lo, s3
	s_cbranch_execz .LBB0_6
.LBB0_3:                                ; =>This Inner Loop Header: Depth=1
	global_load_b32 v10, v[2:3], off
	s_mov_b32 s1, exec_lo
	s_waitcnt vmcnt(0)
	v_cmpx_lt_f32_e32 s18, v10
	s_cbranch_execz .LBB0_2
; %bb.4:                                ;   in Loop: Header=BB0_3 Depth=1
	v_subrev_f32_e32 v10, s18, v10
	s_delay_alu instid0(VALU_DEP_1) | instskip(NEXT) | instid1(VALU_DEP_1)
	v_div_scale_f32 v11, null, v6, v6, v10
	v_rcp_f32_e32 v12, v11
	s_waitcnt_depctr 0xfff
	v_fma_f32 v13, -v11, v12, 1.0
	s_delay_alu instid0(VALU_DEP_1) | instskip(SKIP_1) | instid1(VALU_DEP_1)
	v_fmac_f32_e32 v12, v13, v12
	v_div_scale_f32 v13, vcc_lo, v10, v6, v10
	v_mul_f32_e32 v14, v13, v12
	s_delay_alu instid0(VALU_DEP_1) | instskip(NEXT) | instid1(VALU_DEP_1)
	v_fma_f32 v15, -v11, v14, v13
	v_fmac_f32_e32 v14, v15, v12
	s_delay_alu instid0(VALU_DEP_1) | instskip(NEXT) | instid1(VALU_DEP_1)
	v_fma_f32 v11, -v11, v14, v13
	v_div_fmas_f32 v11, v11, v12, v14
	s_delay_alu instid0(VALU_DEP_1) | instskip(NEXT) | instid1(VALU_DEP_1)
	v_div_fixup_f32 v10, v11, v6, v10
	v_mul_f32_e32 v10, 0x45000000, v10
	s_delay_alu instid0(VALU_DEP_1) | instskip(NEXT) | instid1(VALU_DEP_1)
	v_cvt_i32_f32_e32 v10, v10
	v_cmp_lt_i32_e32 vcc_lo, 0, v10
	s_and_b32 exec_lo, exec_lo, vcc_lo
	s_cbranch_execz .LBB0_2
; %bb.5:                                ;   in Loop: Header=BB0_3 Depth=1
	v_min_u32_e32 v10, 0x7ff, v10
	s_delay_alu instid0(VALU_DEP_1)
	v_lshl_add_u32 v10, v10, 2, -4
	ds_add_u32 v10, v9
	s_branch .LBB0_2
.LBB0_6:
	s_or_b32 exec_lo, exec_lo, s2
	s_delay_alu instid0(SALU_CYCLE_1)
	s_mov_b32 s7, exec_lo
	s_waitcnt lgkmcnt(0)
	s_barrier
	buffer_gl0_inv
	v_cmpx_gt_u32_e32 64, v0
	s_cbranch_execz .LBB0_8
; %bb.7:
	ds_load_2addr_stride64_b32 v[4:5], v8 offset0:30 offset1:31
	ds_load_2addr_stride64_b32 v[9:10], v8 offset0:28 offset1:29
	v_mbcnt_lo_u32_b32 v15, -1, 0
	v_cmp_lt_u32_e64 s2, 61, v0
	v_cmp_lt_u32_e64 s4, 47, v0
	;; [unrolled: 1-line block ×3, first 2 shown]
	s_delay_alu instid0(VALU_DEP_4) | instskip(SKIP_4) | instid1(VALU_DEP_4)
	v_cmp_ne_u32_e32 vcc_lo, 31, v15
	v_cmp_gt_u32_e64 s1, 28, v15
	v_cmp_gt_u32_e64 s3, 16, v15
	v_add_co_ci_u32_e32 v2, vcc_lo, 0, v15, vcc_lo
	v_cmp_gt_u32_e32 vcc_lo, 30, v15
	v_cndmask_b32_e64 v16, 0, 1, s1
	v_cmp_gt_u32_e64 s1, 24, v15
	s_delay_alu instid0(VALU_DEP_4)
	v_lshlrev_b32_e32 v2, 2, v2
	v_cndmask_b32_e64 v11, 0, 1, vcc_lo
	v_cmp_eq_u32_e32 vcc_lo, 63, v0
	v_lshlrev_b32_e32 v16, 2, v16
	s_waitcnt lgkmcnt(1)
	ds_bpermute_b32 v3, v2, v5
	ds_bpermute_b32 v13, v2, v4
	v_lshlrev_b32_e32 v11, 1, v11
	s_waitcnt lgkmcnt(1)
	v_cndmask_b32_e64 v12, v3, 0, vcc_lo
	s_delay_alu instid0(VALU_DEP_2) | instskip(SKIP_2) | instid1(VALU_DEP_3)
	v_add_lshl_u32 v3, v11, v15, 2
	s_waitcnt lgkmcnt(0)
	v_cndmask_b32_e64 v13, v13, 0, vcc_lo
	v_add_nc_u32_e32 v14, v12, v5
	ds_load_2addr_stride64_b32 v[11:12], v8 offset0:26 offset1:27
	ds_bpermute_b32 v17, v2, v10
	v_add_nc_u32_e32 v4, v13, v4
	ds_bpermute_b32 v19, v2, v9
	ds_bpermute_b32 v5, v3, v14
	;; [unrolled: 1-line block ×3, first 2 shown]
	s_waitcnt lgkmcnt(2)
	v_cndmask_b32_e64 v19, v19, 0, vcc_lo
	s_waitcnt lgkmcnt(1)
	v_cndmask_b32_e64 v13, v5, 0, s2
	v_add_lshl_u32 v5, v16, v15, 2
	v_cndmask_b32_e64 v16, v17, 0, vcc_lo
	v_cndmask_b32_e64 v17, 0, 1, s1
	v_cmp_lt_u32_e64 s1, 59, v0
	v_add_nc_u32_e32 v13, v13, v14
	v_add_nc_u32_e32 v19, v19, v9
	v_add_nc_u32_e32 v10, v16, v10
	s_waitcnt lgkmcnt(0)
	v_cndmask_b32_e64 v16, v18, 0, s2
	v_lshlrev_b32_e32 v17, 3, v17
	ds_bpermute_b32 v14, v5, v13
	ds_bpermute_b32 v23, v3, v19
	;; [unrolled: 1-line block ×3, first 2 shown]
	v_add_nc_u32_e32 v16, v16, v4
	v_add_lshl_u32 v4, v17, v15, 2
	ds_bpermute_b32 v20, v5, v16
	s_waitcnt lgkmcnt(3)
	v_cndmask_b32_e64 v14, v14, 0, s1
	s_waitcnt lgkmcnt(2)
	v_cndmask_b32_e64 v23, v23, 0, s2
	;; [unrolled: 2-line block ×3, first 2 shown]
	v_cndmask_b32_e64 v18, 0, 1, s3
	v_cmp_lt_u32_e64 s3, 55, v0
	v_add_nc_u32_e32 v17, v14, v13
	ds_load_2addr_stride64_b32 v[13:14], v8 offset0:24 offset1:25
	v_add_nc_u32_e32 v10, v9, v10
	s_waitcnt lgkmcnt(1)
	v_cndmask_b32_e64 v9, v20, 0, s1
	v_lshlrev_b32_e32 v18, 4, v18
	ds_bpermute_b32 v21, v4, v17
	v_add_nc_u32_e32 v19, v23, v19
	ds_bpermute_b32 v20, v5, v10
	v_add_nc_u32_e32 v16, v9, v16
	v_add_lshl_u32 v9, v18, v15, 2
	ds_bpermute_b32 v23, v5, v19
	ds_bpermute_b32 v18, v4, v16
	s_waitcnt lgkmcnt(3)
	v_cndmask_b32_e64 v21, v21, 0, s3
	s_waitcnt lgkmcnt(2)
	v_cndmask_b32_e64 v20, v20, 0, s1
	s_delay_alu instid0(VALU_DEP_2)
	v_add_nc_u32_e32 v17, v21, v17
	ds_bpermute_b32 v21, v2, v11
	v_add_nc_u32_e32 v20, v20, v10
	s_waitcnt lgkmcnt(1)
	v_cndmask_b32_e64 v10, v18, 0, s3
	ds_bpermute_b32 v25, v4, v20
	v_add_nc_u32_e32 v16, v10, v16
	v_lshlrev_b32_e32 v10, 2, v15
	s_waitcnt lgkmcnt(1)
	v_cndmask_b32_e64 v21, v21, 0, vcc_lo
	s_delay_alu instid0(VALU_DEP_1) | instskip(SKIP_3) | instid1(VALU_DEP_1)
	v_add_nc_u32_e32 v21, v21, v11
	ds_bpermute_b32 v11, v9, v16
	s_waitcnt lgkmcnt(0)
	v_cndmask_b32_e64 v11, v11, 0, s4
	v_add_nc_u32_e32 v27, v11, v16
	v_mov_b32_e32 v11, 0
	ds_bpermute_b32 v22, v2, v12
	ds_bpermute_b32 v18, v2, v14
	;; [unrolled: 1-line block ×4, first 2 shown]
	s_waitcnt lgkmcnt(3)
	v_cndmask_b32_e64 v22, v22, 0, vcc_lo
	s_waitcnt lgkmcnt(2)
	v_cndmask_b32_e64 v18, v18, 0, vcc_lo
	s_delay_alu instid0(VALU_DEP_2)
	v_add_nc_u32_e32 v12, v22, v12
	ds_bpermute_b32 v22, v9, v17
	v_add_nc_u32_e32 v14, v18, v14
	ds_bpermute_b32 v24, v3, v12
	ds_bpermute_b32 v28, v3, v14
	s_waitcnt lgkmcnt(2)
	v_cndmask_b32_e64 v22, v22, 0, s4
	s_waitcnt lgkmcnt(1)
	v_cndmask_b32_e64 v15, v24, 0, s2
	s_delay_alu instid0(VALU_DEP_2)
	v_add_nc_u32_e32 v17, v22, v17
	ds_bpermute_b32 v22, v3, v21
	v_add_nc_u32_e32 v24, v15, v12
	ds_bpermute_b32 v12, v10, v17
	v_cndmask_b32_e64 v15, v23, 0, s1
	ds_bpermute_b32 v23, v5, v24
	v_add_nc_u32_e32 v19, v15, v19
	v_cndmask_b32_e64 v15, v25, 0, s3
	ds_bpermute_b32 v25, v4, v19
	v_add_nc_u32_e32 v20, v15, v20
	ds_load_2addr_stride64_b32 v[15:16], v8 offset0:22 offset1:23
	s_waitcnt lgkmcnt(4)
	v_cndmask_b32_e64 v18, v22, 0, s2
	ds_bpermute_b32 v22, v9, v20
	s_waitcnt lgkmcnt(4)
	v_cndmask_b32_e64 v12, v12, 0, s5
	v_add_nc_u32_e32 v21, v18, v21
	s_delay_alu instid0(VALU_DEP_2)
	v_add_nc_u32_e32 v12, v12, v17
	s_waitcnt lgkmcnt(3)
	v_cndmask_b32_e64 v17, v23, 0, s1
	ds_bpermute_b32 v30, v5, v21
	ds_bpermute_b32 v23, v11, v12
	v_add_nc_u32_e32 v24, v17, v24
	s_waitcnt lgkmcnt(4)
	v_cndmask_b32_e64 v17, v25, 0, s3
	v_cndmask_b32_e64 v25, v26, 0, vcc_lo
	ds_bpermute_b32 v26, v4, v24
	v_add_nc_u32_e32 v19, v17, v19
	ds_load_2addr_stride64_b32 v[17:18], v8 offset0:20 offset1:21
	s_waitcnt lgkmcnt(4)
	v_cndmask_b32_e64 v22, v22, 0, s4
	ds_bpermute_b32 v31, v2, v16
	v_add_nc_u32_e32 v25, v25, v13
	ds_bpermute_b32 v32, v9, v19
	v_cndmask_b32_e64 v13, v29, 0, s5
	v_add_nc_u32_e32 v20, v22, v20
	v_cndmask_b32_e64 v22, v28, 0, s2
	ds_bpermute_b32 v28, v3, v25
	ds_bpermute_b32 v29, v10, v20
	s_waitcnt lgkmcnt(6)
	v_add3_u32 v13, v13, v27, v23
	v_add_nc_u32_e32 v22, v22, v14
	v_cndmask_b32_e64 v14, v30, 0, s1
	ds_bpermute_b32 v23, v11, v13
	ds_bpermute_b32 v27, v5, v22
	v_add_nc_u32_e32 v21, v14, v21
	s_waitcnt lgkmcnt(7)
	v_cndmask_b32_e64 v14, v26, 0, s3
	s_waitcnt lgkmcnt(5)
	v_cndmask_b32_e64 v26, v31, 0, vcc_lo
	ds_bpermute_b32 v31, v2, v15
	ds_bpermute_b32 v30, v4, v21
	v_add_nc_u32_e32 v24, v14, v24
	s_waitcnt lgkmcnt(6)
	v_cndmask_b32_e64 v14, v32, 0, s4
	v_add_nc_u32_e32 v16, v26, v16
	ds_bpermute_b32 v26, v9, v24
	v_add_nc_u32_e32 v32, v14, v19
	s_waitcnt lgkmcnt(5)
	v_cndmask_b32_e64 v14, v29, 0, s5
	v_cndmask_b32_e64 v19, v28, 0, s2
	ds_bpermute_b32 v28, v3, v16
	ds_bpermute_b32 v29, v10, v32
	s_waitcnt lgkmcnt(6)
	v_add3_u32 v14, v14, v20, v23
	v_add_nc_u32_e32 v23, v19, v25
	s_waitcnt lgkmcnt(5)
	v_cndmask_b32_e64 v19, v27, 0, s1
	ds_bpermute_b32 v25, v11, v14
	ds_bpermute_b32 v27, v5, v23
	v_add_nc_u32_e32 v22, v19, v22
	s_waitcnt lgkmcnt(5)
	v_cndmask_b32_e64 v19, v30, 0, s3
	v_cndmask_b32_e64 v30, v31, 0, vcc_lo
	ds_bpermute_b32 v31, v4, v22
	v_add_nc_u32_e32 v21, v19, v21
	ds_load_2addr_stride64_b32 v[19:20], v8 offset0:18 offset1:19
	s_waitcnt lgkmcnt(6)
	v_cndmask_b32_e64 v26, v26, 0, s4
	ds_bpermute_b32 v33, v2, v18
	v_add_nc_u32_e32 v30, v30, v15
	ds_bpermute_b32 v34, v9, v21
	s_waitcnt lgkmcnt(6)
	v_cndmask_b32_e64 v15, v29, 0, s5
	v_add_nc_u32_e32 v24, v26, v24
	v_cndmask_b32_e64 v26, v28, 0, s2
	ds_bpermute_b32 v28, v3, v30
	ds_bpermute_b32 v29, v10, v24
	s_waitcnt lgkmcnt(7)
	v_add3_u32 v15, v15, v32, v25
	v_add_nc_u32_e32 v25, v26, v16
	s_waitcnt lgkmcnt(6)
	v_cndmask_b32_e64 v16, v27, 0, s1
	ds_bpermute_b32 v26, v11, v15
	ds_bpermute_b32 v27, v5, v25
	v_add_nc_u32_e32 v23, v16, v23
	s_waitcnt lgkmcnt(7)
	v_cndmask_b32_e64 v16, v31, 0, s3
	s_waitcnt lgkmcnt(5)
	v_cndmask_b32_e64 v31, v33, 0, vcc_lo
	ds_bpermute_b32 v32, v4, v23
	v_add_nc_u32_e32 v33, v16, v22
	s_waitcnt lgkmcnt(5)
	v_cndmask_b32_e64 v16, v34, 0, s4
	ds_bpermute_b32 v22, v2, v17
	v_add_nc_u32_e32 v18, v31, v18
	ds_bpermute_b32 v31, v9, v33
	v_add_nc_u32_e32 v34, v16, v21
	s_waitcnt lgkmcnt(5)
	v_cndmask_b32_e64 v16, v29, 0, s5
	v_cndmask_b32_e64 v21, v28, 0, s2
	ds_bpermute_b32 v28, v3, v18
	ds_bpermute_b32 v29, v10, v34
	s_waitcnt lgkmcnt(6)
	v_add3_u32 v16, v16, v24, v26
	v_add_nc_u32_e32 v24, v21, v30
	s_waitcnt lgkmcnt(5)
	v_cndmask_b32_e64 v21, v27, 0, s1
	ds_bpermute_b32 v26, v11, v16
	ds_bpermute_b32 v27, v5, v24
	v_add_nc_u32_e32 v25, v21, v25
	s_waitcnt lgkmcnt(6)
	v_cndmask_b32_e64 v21, v32, 0, s3
	s_waitcnt lgkmcnt(5)
	v_cndmask_b32_e64 v30, v22, 0, vcc_lo
	ds_bpermute_b32 v32, v4, v25
	v_add_nc_u32_e32 v23, v21, v23
	ds_load_2addr_stride64_b32 v[21:22], v8 offset0:16 offset1:17
	s_waitcnt lgkmcnt(6)
	v_cndmask_b32_e64 v31, v31, 0, s4
	ds_bpermute_b32 v35, v2, v20
	v_add_nc_u32_e32 v30, v30, v17
	ds_bpermute_b32 v36, v9, v23
	s_waitcnt lgkmcnt(6)
	v_cndmask_b32_e64 v17, v29, 0, s5
	v_add_nc_u32_e32 v31, v31, v33
	v_cndmask_b32_e64 v28, v28, 0, s2
	ds_bpermute_b32 v29, v3, v30
	ds_bpermute_b32 v33, v10, v31
	s_waitcnt lgkmcnt(7)
	v_add3_u32 v17, v17, v34, v26
	v_add_nc_u32_e32 v26, v28, v18
	s_waitcnt lgkmcnt(6)
	v_cndmask_b32_e64 v18, v27, 0, s1
	ds_bpermute_b32 v27, v11, v17
	ds_bpermute_b32 v28, v5, v26
	v_add_nc_u32_e32 v24, v18, v24
	s_waitcnt lgkmcnt(7)
	v_cndmask_b32_e64 v18, v32, 0, s3
	s_waitcnt lgkmcnt(5)
	v_cndmask_b32_e64 v32, v35, 0, vcc_lo
	ds_bpermute_b32 v35, v2, v19
	ds_bpermute_b32 v34, v4, v24
	v_add_nc_u32_e32 v25, v18, v25
	s_waitcnt lgkmcnt(6)
	v_cndmask_b32_e64 v18, v36, 0, s4
	v_add_nc_u32_e32 v20, v32, v20
	s_waitcnt lgkmcnt(5)
	v_cndmask_b32_e64 v29, v29, 0, s2
	ds_bpermute_b32 v32, v9, v25
	v_add_nc_u32_e32 v23, v18, v23
	s_waitcnt lgkmcnt(5)
	v_cndmask_b32_e64 v18, v33, 0, s5
	ds_bpermute_b32 v33, v3, v20
	ds_bpermute_b32 v36, v10, v23
	s_waitcnt lgkmcnt(6)
	v_add3_u32 v18, v18, v31, v27
	v_add_nc_u32_e32 v27, v29, v30
	s_waitcnt lgkmcnt(5)
	v_cndmask_b32_e64 v28, v28, 0, s1
	ds_bpermute_b32 v29, v11, v18
	ds_bpermute_b32 v30, v5, v27
	v_add_nc_u32_e32 v26, v28, v26
	s_waitcnt lgkmcnt(5)
	v_cndmask_b32_e64 v28, v34, 0, s3
	v_cndmask_b32_e64 v31, v35, 0, vcc_lo
	ds_bpermute_b32 v34, v4, v26
	v_add_nc_u32_e32 v24, v28, v24
	s_waitcnt lgkmcnt(5)
	v_cndmask_b32_e64 v28, v32, 0, s4
	ds_bpermute_b32 v32, v2, v22
	v_add_nc_u32_e32 v31, v31, v19
	ds_bpermute_b32 v35, v9, v24
	v_add_nc_u32_e32 v25, v28, v25
	s_waitcnt lgkmcnt(5)
	v_cndmask_b32_e64 v19, v36, 0, s5
	v_cndmask_b32_e64 v28, v33, 0, s2
	ds_bpermute_b32 v33, v3, v31
	ds_bpermute_b32 v36, v10, v25
	s_waitcnt lgkmcnt(6)
	v_add3_u32 v19, v19, v23, v29
	v_add_nc_u32_e32 v28, v28, v20
	s_waitcnt lgkmcnt(5)
	v_cndmask_b32_e64 v20, v30, 0, s1
	ds_bpermute_b32 v29, v11, v19
	ds_bpermute_b32 v30, v5, v28
	v_add_nc_u32_e32 v27, v20, v27
	s_waitcnt lgkmcnt(6)
	v_cndmask_b32_e64 v20, v34, 0, s3
	s_waitcnt lgkmcnt(5)
	v_cndmask_b32_e64 v23, v32, 0, vcc_lo
	ds_bpermute_b32 v32, v4, v27
	v_add_nc_u32_e32 v34, v20, v26
	s_waitcnt lgkmcnt(5)
	v_cndmask_b32_e64 v20, v35, 0, s4
	ds_bpermute_b32 v26, v2, v21
	v_add_nc_u32_e32 v22, v23, v22
	s_waitcnt lgkmcnt(5)
	v_cndmask_b32_e64 v33, v33, 0, s2
	;; [unrolled: 4-line block ×3, first 2 shown]
	ds_load_2addr_stride64_b32 v[23:24], v8 offset0:14 offset1:15
	ds_bpermute_b32 v36, v3, v22
	ds_bpermute_b32 v38, v10, v37
	s_waitcnt lgkmcnt(7)
	v_add3_u32 v20, v20, v25, v29
	v_add_nc_u32_e32 v29, v33, v31
	s_waitcnt lgkmcnt(6)
	v_cndmask_b32_e64 v25, v30, 0, s1
	ds_bpermute_b32 v30, v11, v20
	ds_bpermute_b32 v31, v5, v29
	v_add_nc_u32_e32 v28, v25, v28
	s_waitcnt lgkmcnt(7)
	v_cndmask_b32_e64 v25, v32, 0, s3
	s_waitcnt lgkmcnt(6)
	v_cndmask_b32_e64 v32, v26, 0, vcc_lo
	ds_bpermute_b32 v33, v4, v28
	v_add_nc_u32_e32 v27, v25, v27
	ds_load_2addr_stride64_b32 v[25:26], v8 offset0:12 offset1:13
	s_waitcnt lgkmcnt(7)
	v_cndmask_b32_e64 v35, v35, 0, s4
	s_waitcnt lgkmcnt(6)
	ds_bpermute_b32 v39, v2, v24
	v_add_nc_u32_e32 v32, v32, v21
	ds_bpermute_b32 v40, v9, v27
	s_waitcnt lgkmcnt(6)
	v_cndmask_b32_e64 v21, v38, 0, s5
	v_add_nc_u32_e32 v34, v35, v34
	v_cndmask_b32_e64 v35, v36, 0, s2
	ds_bpermute_b32 v36, v3, v32
	ds_bpermute_b32 v38, v10, v34
	s_waitcnt lgkmcnt(7)
	v_add3_u32 v21, v21, v37, v30
	v_add_nc_u32_e32 v30, v35, v22
	s_waitcnt lgkmcnt(6)
	v_cndmask_b32_e64 v22, v31, 0, s1
	ds_bpermute_b32 v31, v11, v21
	ds_bpermute_b32 v35, v5, v30
	v_add_nc_u32_e32 v29, v22, v29
	s_waitcnt lgkmcnt(7)
	v_cndmask_b32_e64 v22, v33, 0, s3
	s_waitcnt lgkmcnt(5)
	v_cndmask_b32_e64 v33, v39, 0, vcc_lo
	ds_bpermute_b32 v37, v4, v29
	v_add_nc_u32_e32 v39, v22, v28
	s_waitcnt lgkmcnt(5)
	v_cndmask_b32_e64 v22, v40, 0, s4
	ds_bpermute_b32 v28, v2, v23
	v_add_nc_u32_e32 v24, v33, v24
	ds_bpermute_b32 v33, v9, v39
	v_add_nc_u32_e32 v40, v22, v27
	s_waitcnt lgkmcnt(5)
	v_cndmask_b32_e64 v22, v38, 0, s5
	v_cndmask_b32_e64 v27, v36, 0, s2
	ds_bpermute_b32 v36, v3, v24
	ds_bpermute_b32 v38, v10, v40
	s_waitcnt lgkmcnt(6)
	v_add3_u32 v22, v22, v34, v31
	v_add_nc_u32_e32 v31, v27, v32
	s_waitcnt lgkmcnt(5)
	v_cndmask_b32_e64 v27, v35, 0, s1
	ds_bpermute_b32 v32, v11, v22
	ds_bpermute_b32 v34, v5, v31
	v_add_nc_u32_e32 v30, v27, v30
	s_waitcnt lgkmcnt(6)
	v_cndmask_b32_e64 v27, v37, 0, s3
	s_waitcnt lgkmcnt(5)
	v_cndmask_b32_e64 v35, v28, 0, vcc_lo
	ds_bpermute_b32 v37, v4, v30
	v_add_nc_u32_e32 v29, v27, v29
	ds_load_2addr_stride64_b32 v[27:28], v8 offset0:10 offset1:11
	s_waitcnt lgkmcnt(6)
	v_cndmask_b32_e64 v33, v33, 0, s4
	ds_bpermute_b32 v41, v2, v26
	v_add_nc_u32_e32 v35, v35, v23
	ds_bpermute_b32 v42, v9, v29
	s_waitcnt lgkmcnt(6)
	v_cndmask_b32_e64 v23, v38, 0, s5
	v_add_nc_u32_e32 v33, v33, v39
	v_cndmask_b32_e64 v36, v36, 0, s2
	ds_bpermute_b32 v38, v3, v35
	ds_bpermute_b32 v39, v10, v33
	s_waitcnt lgkmcnt(7)
	v_add3_u32 v23, v23, v40, v32
	v_add_nc_u32_e32 v32, v36, v24
	s_waitcnt lgkmcnt(6)
	v_cndmask_b32_e64 v24, v34, 0, s1
	ds_bpermute_b32 v34, v11, v23
	ds_bpermute_b32 v36, v5, v32
	v_add_nc_u32_e32 v31, v24, v31
	s_waitcnt lgkmcnt(7)
	v_cndmask_b32_e64 v24, v37, 0, s3
	s_waitcnt lgkmcnt(5)
	v_cndmask_b32_e64 v37, v41, 0, vcc_lo
	ds_bpermute_b32 v40, v4, v31
	v_add_nc_u32_e32 v41, v24, v30
	s_waitcnt lgkmcnt(5)
	v_cndmask_b32_e64 v24, v42, 0, s4
	ds_bpermute_b32 v30, v2, v25
	v_add_nc_u32_e32 v26, v37, v26
	ds_bpermute_b32 v37, v9, v41
	v_add_nc_u32_e32 v42, v24, v29
	s_waitcnt lgkmcnt(5)
	v_cndmask_b32_e64 v24, v39, 0, s5
	v_cndmask_b32_e64 v29, v38, 0, s2
	ds_bpermute_b32 v38, v3, v26
	ds_bpermute_b32 v39, v10, v42
	s_waitcnt lgkmcnt(6)
	v_add3_u32 v24, v24, v33, v34
	v_add_nc_u32_e32 v33, v29, v35
	s_waitcnt lgkmcnt(5)
	v_cndmask_b32_e64 v29, v36, 0, s1
	ds_bpermute_b32 v34, v11, v24
	ds_bpermute_b32 v35, v5, v33
	v_add_nc_u32_e32 v32, v29, v32
	s_waitcnt lgkmcnt(6)
	v_cndmask_b32_e64 v29, v40, 0, s3
	s_waitcnt lgkmcnt(5)
	v_cndmask_b32_e64 v36, v30, 0, vcc_lo
	ds_bpermute_b32 v40, v4, v32
	v_add_nc_u32_e32 v31, v29, v31
	ds_load_2addr_stride64_b32 v[29:30], v8 offset0:8 offset1:9
	s_waitcnt lgkmcnt(6)
	v_cndmask_b32_e64 v37, v37, 0, s4
	ds_bpermute_b32 v43, v2, v28
	v_add_nc_u32_e32 v25, v36, v25
	ds_bpermute_b32 v36, v9, v31
	s_waitcnt lgkmcnt(6)
	v_cndmask_b32_e64 v39, v39, 0, s5
	v_add_nc_u32_e32 v37, v37, v41
	v_cndmask_b32_e64 v38, v38, 0, s2
	ds_bpermute_b32 v41, v3, v25
	ds_bpermute_b32 v44, v10, v37
	s_waitcnt lgkmcnt(7)
	v_add3_u32 v34, v39, v42, v34
	v_add_nc_u32_e32 v26, v38, v26
	s_waitcnt lgkmcnt(6)
	v_cndmask_b32_e64 v35, v35, 0, s1
	ds_bpermute_b32 v38, v11, v34
	ds_bpermute_b32 v39, v5, v26
	v_add_nc_u32_e32 v33, v35, v33
	s_waitcnt lgkmcnt(7)
	v_cndmask_b32_e64 v35, v40, 0, s3
	s_waitcnt lgkmcnt(5)
	v_cndmask_b32_e64 v40, v43, 0, vcc_lo
	ds_bpermute_b32 v42, v4, v33
	v_add_nc_u32_e32 v32, v35, v32
	s_waitcnt lgkmcnt(5)
	v_cndmask_b32_e64 v35, v36, 0, s4
	ds_bpermute_b32 v36, v2, v27
	v_add_nc_u32_e32 v28, v40, v28
	s_waitcnt lgkmcnt(5)
	v_cndmask_b32_e64 v41, v41, 0, s2
	;; [unrolled: 4-line block ×3, first 2 shown]
	ds_bpermute_b32 v43, v3, v28
	v_add_nc_u32_e32 v25, v41, v25
	ds_bpermute_b32 v44, v10, v31
	s_waitcnt lgkmcnt(6)
	v_add3_u32 v35, v35, v37, v38
	s_waitcnt lgkmcnt(5)
	v_cndmask_b32_e64 v37, v39, 0, s1
	ds_bpermute_b32 v39, v5, v25
	ds_bpermute_b32 v38, v11, v35
	v_add_nc_u32_e32 v26, v37, v26
	s_waitcnt lgkmcnt(6)
	v_cndmask_b32_e64 v37, v42, 0, s3
	s_waitcnt lgkmcnt(5)
	v_cndmask_b32_e64 v36, v36, 0, vcc_lo
	ds_bpermute_b32 v41, v4, v26
	v_add_nc_u32_e32 v33, v37, v33
	s_waitcnt lgkmcnt(5)
	v_cndmask_b32_e64 v37, v40, 0, s4
	ds_bpermute_b32 v40, v2, v30
	v_add_nc_u32_e32 v27, v36, v27
	s_waitcnt lgkmcnt(5)
	v_cndmask_b32_e64 v42, v43, 0, s2
	;; [unrolled: 4-line block ×3, first 2 shown]
	ds_bpermute_b32 v43, v3, v27
	v_add_nc_u32_e32 v28, v42, v28
	ds_bpermute_b32 v44, v10, v32
	s_waitcnt lgkmcnt(5)
	v_add3_u32 v31, v37, v31, v38
	v_cndmask_b32_e64 v37, v39, 0, s1
	ds_bpermute_b32 v39, v5, v28
	ds_bpermute_b32 v38, v11, v31
	v_add_nc_u32_e32 v37, v37, v25
	s_waitcnt lgkmcnt(6)
	v_cndmask_b32_e64 v25, v41, 0, s3
	s_waitcnt lgkmcnt(5)
	v_cndmask_b32_e64 v40, v40, 0, vcc_lo
	ds_bpermute_b32 v41, v4, v37
	v_add_nc_u32_e32 v42, v25, v26
	s_waitcnt lgkmcnt(5)
	v_cndmask_b32_e64 v25, v36, 0, s4
	ds_bpermute_b32 v36, v2, v29
	v_add_nc_u32_e32 v30, v40, v30
	s_waitcnt lgkmcnt(5)
	v_cndmask_b32_e64 v40, v43, 0, s2
	;; [unrolled: 4-line block ×3, first 2 shown]
	ds_load_2addr_stride64_b32 v[25:26], v8 offset0:6 offset1:7
	ds_bpermute_b32 v45, v3, v30
	ds_bpermute_b32 v46, v10, v33
	s_waitcnt lgkmcnt(6)
	v_add3_u32 v32, v44, v32, v38
	v_add_nc_u32_e32 v38, v40, v27
	v_cndmask_b32_e64 v27, v39, 0, s1
	ds_bpermute_b32 v39, v11, v32
	ds_bpermute_b32 v40, v5, v38
	v_add_nc_u32_e32 v44, v27, v28
	s_waitcnt lgkmcnt(7)
	v_cndmask_b32_e64 v27, v41, 0, s3
	s_waitcnt lgkmcnt(6)
	v_cndmask_b32_e64 v36, v36, 0, vcc_lo
	ds_bpermute_b32 v41, v4, v44
	v_add_nc_u32_e32 v37, v27, v37
	ds_load_2addr_stride64_b32 v[27:28], v8 offset0:4 offset1:5
	s_waitcnt lgkmcnt(7)
	v_cndmask_b32_e64 v43, v43, 0, s4
	s_waitcnt lgkmcnt(6)
	ds_bpermute_b32 v47, v2, v26
	v_add_nc_u32_e32 v29, v36, v29
	ds_bpermute_b32 v36, v9, v37
	s_waitcnt lgkmcnt(7)
	v_cndmask_b32_e64 v45, v45, 0, s2
	v_add_nc_u32_e32 v42, v43, v42
	s_waitcnt lgkmcnt(6)
	v_cndmask_b32_e64 v43, v46, 0, s5
	ds_bpermute_b32 v46, v3, v29
	v_add_nc_u32_e32 v30, v45, v30
	ds_bpermute_b32 v48, v10, v42
	s_waitcnt lgkmcnt(7)
	v_add3_u32 v33, v43, v33, v39
	s_waitcnt lgkmcnt(6)
	v_cndmask_b32_e64 v39, v40, 0, s1
	ds_bpermute_b32 v43, v5, v30
	ds_bpermute_b32 v40, v11, v33
	v_add_nc_u32_e32 v38, v39, v38
	s_waitcnt lgkmcnt(7)
	v_cndmask_b32_e64 v39, v41, 0, s3
	s_waitcnt lgkmcnt(5)
	v_cndmask_b32_e64 v41, v47, 0, vcc_lo
	ds_bpermute_b32 v45, v4, v38
	v_add_nc_u32_e32 v39, v39, v44
	s_waitcnt lgkmcnt(5)
	v_cndmask_b32_e64 v36, v36, 0, s4
	ds_bpermute_b32 v44, v2, v25
	v_add_nc_u32_e32 v26, v41, v26
	s_waitcnt lgkmcnt(5)
	v_cndmask_b32_e64 v46, v46, 0, s2
	;; [unrolled: 4-line block ×3, first 2 shown]
	ds_bpermute_b32 v47, v3, v26
	ds_bpermute_b32 v48, v10, v36
	s_waitcnt lgkmcnt(5)
	v_add3_u32 v37, v37, v42, v40
	v_add_nc_u32_e32 v40, v46, v29
	v_cndmask_b32_e64 v29, v43, 0, s1
	ds_bpermute_b32 v42, v11, v37
	ds_bpermute_b32 v43, v5, v40
	v_add_nc_u32_e32 v46, v29, v30
	s_waitcnt lgkmcnt(6)
	v_cndmask_b32_e64 v29, v45, 0, s3
	s_waitcnt lgkmcnt(5)
	v_cndmask_b32_e64 v44, v44, 0, vcc_lo
	ds_bpermute_b32 v45, v4, v46
	v_add_nc_u32_e32 v38, v29, v38
	ds_load_2addr_stride64_b32 v[29:30], v8 offset0:2 offset1:3
	s_waitcnt lgkmcnt(6)
	v_cndmask_b32_e64 v41, v41, 0, s4
	ds_bpermute_b32 v49, v2, v28
	v_add_nc_u32_e32 v25, v44, v25
	ds_bpermute_b32 v44, v9, v38
	s_waitcnt lgkmcnt(7)
	v_cndmask_b32_e64 v47, v47, 0, s2
	v_add_nc_u32_e32 v39, v41, v39
	s_waitcnt lgkmcnt(6)
	v_cndmask_b32_e64 v41, v48, 0, s5
	ds_bpermute_b32 v48, v3, v25
	v_add_nc_u32_e32 v26, v47, v26
	ds_bpermute_b32 v50, v10, v39
	s_waitcnt lgkmcnt(7)
	v_add3_u32 v36, v41, v36, v42
	s_waitcnt lgkmcnt(6)
	v_cndmask_b32_e64 v41, v43, 0, s1
	ds_bpermute_b32 v43, v5, v26
	ds_bpermute_b32 v42, v11, v36
	v_add_nc_u32_e32 v40, v41, v40
	s_waitcnt lgkmcnt(7)
	v_cndmask_b32_e64 v41, v45, 0, s3
	s_waitcnt lgkmcnt(5)
	v_cndmask_b32_e64 v45, v49, 0, vcc_lo
	ds_bpermute_b32 v47, v4, v40
	v_add_nc_u32_e32 v41, v41, v46
	s_waitcnt lgkmcnt(5)
	v_cndmask_b32_e64 v44, v44, 0, s4
	ds_bpermute_b32 v46, v2, v27
	v_add_nc_u32_e32 v28, v45, v28
	s_waitcnt lgkmcnt(5)
	v_cndmask_b32_e64 v48, v48, 0, s2
	;; [unrolled: 4-line block ×3, first 2 shown]
	ds_bpermute_b32 v49, v3, v28
	ds_bpermute_b32 v50, v10, v38
	s_waitcnt lgkmcnt(5)
	v_add3_u32 v39, v44, v39, v42
	v_add_nc_u32_e32 v42, v48, v25
	v_cndmask_b32_e64 v25, v43, 0, s1
	ds_bpermute_b32 v43, v11, v39
	ds_bpermute_b32 v44, v5, v42
	v_add_nc_u32_e32 v48, v25, v26
	s_waitcnt lgkmcnt(6)
	v_cndmask_b32_e64 v25, v47, 0, s3
	s_waitcnt lgkmcnt(5)
	v_cndmask_b32_e64 v46, v46, 0, vcc_lo
	ds_bpermute_b32 v47, v4, v48
	v_add_nc_u32_e32 v40, v25, v40
	ds_load_2addr_stride64_b32 v[25:26], v8 offset1:1
	s_waitcnt lgkmcnt(6)
	v_cndmask_b32_e64 v45, v45, 0, s4
	ds_bpermute_b32 v51, v2, v30
	v_add_nc_u32_e32 v27, v46, v27
	ds_bpermute_b32 v46, v9, v40
	s_waitcnt lgkmcnt(7)
	v_cndmask_b32_e64 v49, v49, 0, s2
	v_add_nc_u32_e32 v41, v45, v41
	s_waitcnt lgkmcnt(6)
	v_cndmask_b32_e64 v45, v50, 0, s5
	ds_bpermute_b32 v50, v3, v27
	ds_store_2addr_stride64_b32 v8, v13, v12 offset0:30 offset1:31
	ds_store_2addr_stride64_b32 v8, v15, v14 offset0:28 offset1:29
	;; [unrolled: 1-line block ×8, first 2 shown]
	v_add_nc_u32_e32 v28, v49, v28
	ds_bpermute_b32 v52, v10, v41
	s_waitcnt lgkmcnt(15)
	v_add3_u32 v38, v45, v38, v43
	s_waitcnt lgkmcnt(14)
	v_cndmask_b32_e64 v43, v44, 0, s1
	ds_bpermute_b32 v45, v5, v28
	ds_bpermute_b32 v44, v11, v38
	v_add_nc_u32_e32 v42, v43, v42
	s_waitcnt lgkmcnt(15)
	v_cndmask_b32_e64 v43, v47, 0, s3
	s_waitcnt lgkmcnt(13)
	v_cndmask_b32_e64 v47, v51, 0, vcc_lo
	ds_bpermute_b32 v49, v4, v42
	v_add_nc_u32_e32 v43, v43, v48
	s_waitcnt lgkmcnt(13)
	v_cndmask_b32_e64 v46, v46, 0, s4
	ds_bpermute_b32 v48, v2, v29
	v_add_nc_u32_e32 v30, v47, v30
	s_waitcnt lgkmcnt(13)
	v_cndmask_b32_e64 v50, v50, 0, s2
	;; [unrolled: 4-line block ×3, first 2 shown]
	ds_bpermute_b32 v51, v3, v30
	v_add_nc_u32_e32 v27, v50, v27
	ds_bpermute_b32 v52, v10, v40
	s_waitcnt lgkmcnt(5)
	v_add3_u32 v41, v46, v41, v44
	v_cndmask_b32_e64 v44, v45, 0, s1
	ds_bpermute_b32 v46, v5, v27
	ds_bpermute_b32 v45, v11, v41
	v_add_nc_u32_e32 v28, v44, v28
	s_waitcnt lgkmcnt(6)
	v_cndmask_b32_e64 v44, v49, 0, s3
	s_waitcnt lgkmcnt(5)
	v_cndmask_b32_e64 v48, v48, 0, vcc_lo
	ds_bpermute_b32 v49, v4, v28
	v_add_nc_u32_e32 v42, v44, v42
	s_waitcnt lgkmcnt(5)
	v_cndmask_b32_e64 v44, v47, 0, s4
	ds_bpermute_b32 v47, v2, v26
	v_add_nc_u32_e32 v29, v48, v29
	s_waitcnt lgkmcnt(5)
	v_cndmask_b32_e64 v50, v51, 0, s2
	;; [unrolled: 4-line block ×3, first 2 shown]
	ds_bpermute_b32 v51, v3, v29
	v_add_nc_u32_e32 v30, v50, v30
	ds_bpermute_b32 v2, v2, v25
	ds_bpermute_b32 v52, v10, v43
	s_waitcnt lgkmcnt(6)
	v_add3_u32 v40, v44, v40, v45
	v_cndmask_b32_e64 v44, v46, 0, s1
	ds_bpermute_b32 v46, v5, v30
	ds_bpermute_b32 v45, v11, v40
	v_add_nc_u32_e32 v27, v44, v27
	s_waitcnt lgkmcnt(7)
	v_cndmask_b32_e64 v44, v49, 0, s3
	s_waitcnt lgkmcnt(6)
	v_cndmask_b32_e64 v47, v47, 0, vcc_lo
	ds_bpermute_b32 v49, v4, v27
	v_add_nc_u32_e32 v28, v44, v28
	s_waitcnt lgkmcnt(6)
	v_cndmask_b32_e64 v44, v48, 0, s4
	v_add_nc_u32_e32 v26, v47, v26
	s_waitcnt lgkmcnt(5)
	v_cndmask_b32_e64 v48, v51, 0, s2
	ds_bpermute_b32 v47, v9, v28
	v_add_nc_u32_e32 v42, v44, v42
	s_waitcnt lgkmcnt(4)
	v_cndmask_b32_e64 v44, v52, 0, s5
	ds_bpermute_b32 v50, v3, v26
	v_add_nc_u32_e32 v29, v48, v29
	v_cndmask_b32_e64 v2, v2, 0, vcc_lo
	ds_bpermute_b32 v51, v10, v42
	s_waitcnt lgkmcnt(4)
	v_add3_u32 v43, v44, v43, v45
	v_cndmask_b32_e64 v44, v46, 0, s1
	ds_bpermute_b32 v46, v5, v29
	v_add_nc_u32_e32 v2, v2, v25
	ds_bpermute_b32 v45, v11, v43
	v_add_nc_u32_e32 v30, v44, v30
	s_waitcnt lgkmcnt(5)
	v_cndmask_b32_e64 v44, v49, 0, s3
	ds_bpermute_b32 v3, v3, v2
	ds_bpermute_b32 v48, v4, v30
	v_add_nc_u32_e32 v27, v44, v27
	s_waitcnt lgkmcnt(6)
	v_cndmask_b32_e64 v44, v47, 0, s4
	s_waitcnt lgkmcnt(5)
	v_cndmask_b32_e64 v47, v50, 0, s2
	ds_bpermute_b32 v25, v9, v27
	v_add_nc_u32_e32 v28, v44, v28
	s_waitcnt lgkmcnt(5)
	v_cndmask_b32_e64 v44, v51, 0, s5
	v_add_nc_u32_e32 v26, v47, v26
	ds_bpermute_b32 v49, v10, v28
	s_waitcnt lgkmcnt(4)
	v_add3_u32 v42, v44, v42, v45
	v_cndmask_b32_e64 v44, v46, 0, s1
	ds_bpermute_b32 v46, v5, v26
	s_waitcnt lgkmcnt(4)
	v_cndmask_b32_e64 v3, v3, 0, s2
	ds_bpermute_b32 v45, v11, v42
	v_add_nc_u32_e32 v29, v44, v29
	s_waitcnt lgkmcnt(4)
	v_cndmask_b32_e64 v44, v48, 0, s3
	v_add_nc_u32_e32 v2, v3, v2
	ds_bpermute_b32 v47, v4, v29
	v_add_nc_u32_e32 v30, v44, v30
	s_waitcnt lgkmcnt(4)
	v_cndmask_b32_e64 v25, v25, 0, s4
	ds_bpermute_b32 v5, v5, v2
	ds_bpermute_b32 v44, v9, v30
	v_add_nc_u32_e32 v25, v25, v27
	s_waitcnt lgkmcnt(5)
	v_cndmask_b32_e64 v27, v49, 0, s5
	s_waitcnt lgkmcnt(4)
	v_cndmask_b32_e64 v3, v46, 0, s1
	ds_bpermute_b32 v48, v10, v25
	s_waitcnt lgkmcnt(4)
	v_add3_u32 v27, v27, v28, v45
	v_add_nc_u32_e32 v3, v3, v26
	ds_bpermute_b32 v28, v11, v27
	s_waitcnt lgkmcnt(4)
	v_cndmask_b32_e64 v26, v47, 0, s3
	ds_bpermute_b32 v45, v4, v3
	s_waitcnt lgkmcnt(4)
	v_cndmask_b32_e64 v5, v5, 0, s1
	v_add_nc_u32_e32 v26, v26, v29
	s_waitcnt lgkmcnt(3)
	v_cndmask_b32_e64 v29, v44, 0, s4
	s_delay_alu instid0(VALU_DEP_3)
	v_add_nc_u32_e32 v2, v5, v2
	ds_bpermute_b32 v44, v9, v26
	v_add_nc_u32_e32 v29, v29, v30
	s_waitcnt lgkmcnt(3)
	v_cndmask_b32_e64 v30, v48, 0, s5
	ds_bpermute_b32 v4, v4, v2
	ds_bpermute_b32 v46, v10, v29
	s_waitcnt lgkmcnt(4)
	v_add3_u32 v25, v30, v25, v28
	s_waitcnt lgkmcnt(3)
	v_cndmask_b32_e64 v5, v45, 0, s3
	ds_bpermute_b32 v28, v11, v25
	v_add_nc_u32_e32 v3, v5, v3
	s_waitcnt lgkmcnt(3)
	v_cndmask_b32_e64 v5, v44, 0, s4
	ds_bpermute_b32 v30, v9, v3
	s_waitcnt lgkmcnt(3)
	v_cndmask_b32_e64 v4, v4, 0, s3
	v_add_nc_u32_e32 v5, v5, v26
	s_waitcnt lgkmcnt(2)
	v_cndmask_b32_e64 v26, v46, 0, s5
	s_delay_alu instid0(VALU_DEP_3)
	v_add_nc_u32_e32 v2, v4, v2
	ds_bpermute_b32 v44, v10, v5
	ds_bpermute_b32 v9, v9, v2
	s_waitcnt lgkmcnt(3)
	v_add3_u32 v26, v26, v29, v28
	ds_bpermute_b32 v28, v11, v26
	s_waitcnt lgkmcnt(3)
	v_cndmask_b32_e64 v4, v30, 0, s4
	s_delay_alu instid0(VALU_DEP_1)
	v_add_nc_u32_e32 v3, v4, v3
	s_waitcnt lgkmcnt(2)
	v_cndmask_b32_e64 v4, v44, 0, s5
	ds_bpermute_b32 v29, v10, v3
	s_waitcnt lgkmcnt(2)
	v_cndmask_b32_e64 v9, v9, 0, s4
	s_delay_alu instid0(VALU_DEP_1)
	v_add_nc_u32_e32 v2, v9, v2
	s_waitcnt lgkmcnt(1)
	v_add3_u32 v4, v4, v5, v28
	ds_bpermute_b32 v10, v10, v2
	ds_bpermute_b32 v5, v11, v4
	s_waitcnt lgkmcnt(2)
	v_cndmask_b32_e64 v9, v29, 0, s5
	s_waitcnt lgkmcnt(0)
	s_delay_alu instid0(VALU_DEP_1)
	v_add3_u32 v3, v9, v3, v5
	v_cndmask_b32_e64 v9, v10, 0, s5
	ds_bpermute_b32 v5, v11, v3
	s_waitcnt lgkmcnt(0)
	v_add3_u32 v2, v9, v2, v5
	ds_store_2addr_stride64_b32 v8, v33, v32 offset0:14 offset1:15
	ds_store_2addr_stride64_b32 v8, v36, v37 offset0:12 offset1:13
	;; [unrolled: 1-line block ×7, first 2 shown]
	ds_store_2addr_stride64_b32 v8, v2, v3 offset1:1
.LBB0_8:
	s_or_b32 exec_lo, exec_lo, s7
	s_lshl_b64 s[2:3], s[12:13], 2
	s_delay_alu instid0(SALU_CYCLE_1) | instskip(SKIP_2) | instid1(SALU_CYCLE_1)
	s_add_u32 s1, s10, s2
	s_addc_u32 s4, s11, s3
	s_lshl_b64 s[2:3], s[14:15], 2
	s_add_u32 s2, s1, s2
	s_addc_u32 s3, s4, s3
	s_mov_b32 s1, exec_lo
	v_cmpx_eq_u32_e32 0, v0
	s_cbranch_execz .LBB0_10
; %bb.9:
	v_mov_b32_e32 v2, 0
	global_store_b32 v2, v2, s[2:3]
.LBB0_10:
	s_or_b32 exec_lo, exec_lo, s1
	s_waitcnt lgkmcnt(0)
	s_waitcnt_vscnt null, 0x0
	s_barrier
	buffer_gl0_inv
	s_and_saveexec_b32 s1, s0
	s_cbranch_execz .LBB0_17
; %bb.11:
	s_ashr_i32 s0, s19, 31
	s_mul_hi_u32 s1, s25, s19
	s_mul_i32 s0, s25, s0
	s_mul_i32 s26, s26, s19
	s_add_i32 s1, s1, s0
	s_mul_i32 s0, s25, s19
	s_add_i32 s1, s1, s26
	v_mov_b32_e32 v8, 0
	s_lshl_b64 s[4:5], s[0:1], 2
	s_delay_alu instid0(SALU_CYCLE_1) | instskip(SKIP_2) | instid1(SALU_CYCLE_1)
	s_add_u32 s1, s8, s4
	s_addc_u32 s4, s9, s5
	s_add_i32 s0, s20, s24
	s_add_i32 s7, s0, s21
	s_delay_alu instid0(SALU_CYCLE_1) | instskip(NEXT) | instid1(SALU_CYCLE_1)
	s_lshl_b64 s[6:7], s[6:7], 2
	s_add_u32 s0, s16, s6
	s_addc_u32 s5, s17, s7
	v_add_co_u32 v2, s0, s0, v7
	v_mov_b32_e32 v7, 1
	v_add_co_ci_u32_e64 v3, null, s5, 0, s0
	s_mov_b32 s5, 0
	s_branch .LBB0_13
.LBB0_12:                               ;   in Loop: Header=BB0_13 Depth=1
	s_or_b32 exec_lo, exec_lo, s0
	v_add_co_u32 v0, vcc_lo, 0x100, v0
	v_add_co_ci_u32_e32 v1, vcc_lo, 0, v1, vcc_lo
	v_add_co_u32 v2, s0, 0x400, v2
	s_delay_alu instid0(VALU_DEP_1) | instskip(NEXT) | instid1(VALU_DEP_3)
	v_add_co_ci_u32_e64 v3, s0, 0, v3, s0
	v_cmp_le_u64_e32 vcc_lo, s[22:23], v[0:1]
	s_or_b32 s5, vcc_lo, s5
	s_delay_alu instid0(SALU_CYCLE_1)
	s_and_not1_b32 exec_lo, exec_lo, s5
	s_cbranch_execz .LBB0_17
.LBB0_13:                               ; =>This Inner Loop Header: Depth=1
	global_load_b32 v4, v[2:3], off
	s_mov_b32 s0, exec_lo
	s_waitcnt vmcnt(0)
	v_cmpx_lt_f32_e32 s18, v4
	s_cbranch_execz .LBB0_12
; %bb.14:                               ;   in Loop: Header=BB0_13 Depth=1
	v_subrev_f32_e32 v4, s18, v4
	s_delay_alu instid0(VALU_DEP_1) | instskip(NEXT) | instid1(VALU_DEP_1)
	v_div_scale_f32 v5, null, v6, v6, v4
	v_rcp_f32_e32 v9, v5
	s_waitcnt_depctr 0xfff
	v_fma_f32 v10, -v5, v9, 1.0
	s_delay_alu instid0(VALU_DEP_1) | instskip(SKIP_1) | instid1(VALU_DEP_1)
	v_fmac_f32_e32 v9, v10, v9
	v_div_scale_f32 v10, vcc_lo, v4, v6, v4
	v_mul_f32_e32 v11, v10, v9
	s_delay_alu instid0(VALU_DEP_1) | instskip(NEXT) | instid1(VALU_DEP_1)
	v_fma_f32 v12, -v5, v11, v10
	v_fmac_f32_e32 v11, v12, v9
	s_delay_alu instid0(VALU_DEP_1) | instskip(NEXT) | instid1(VALU_DEP_1)
	v_fma_f32 v5, -v5, v11, v10
	v_div_fmas_f32 v5, v5, v9, v11
	s_delay_alu instid0(VALU_DEP_1) | instskip(NEXT) | instid1(VALU_DEP_1)
	v_div_fixup_f32 v4, v5, v6, v4
	v_mul_f32_e32 v4, 0x45000000, v4
	s_delay_alu instid0(VALU_DEP_1) | instskip(NEXT) | instid1(VALU_DEP_1)
	v_cvt_i32_f32_e32 v4, v4
	v_med3_i32 v4, v4, 0, 0x7ff
	s_delay_alu instid0(VALU_DEP_1)
	v_lshlrev_b32_e32 v4, 2, v4
	ds_add_rtn_u32 v4, v4, v7
	s_waitcnt lgkmcnt(0)
	v_cmp_gt_i32_e32 vcc_lo, s19, v4
	s_and_b32 exec_lo, exec_lo, vcc_lo
	s_cbranch_execz .LBB0_12
; %bb.15:                               ;   in Loop: Header=BB0_13 Depth=1
	v_ashrrev_i32_e32 v5, 31, v4
	s_mov_b32 s6, exec_lo
	s_delay_alu instid0(SALU_CYCLE_1) | instskip(NEXT) | instid1(VALU_DEP_2)
	v_mbcnt_lo_u32_b32 v9, s6, 0
	v_lshlrev_b64 v[4:5], 2, v[4:5]
	s_delay_alu instid0(VALU_DEP_1) | instskip(NEXT) | instid1(VALU_DEP_2)
	v_add_co_u32 v4, vcc_lo, s1, v4
	v_add_co_ci_u32_e32 v5, vcc_lo, s4, v5, vcc_lo
	s_delay_alu instid0(VALU_DEP_4) | instskip(SKIP_2) | instid1(SALU_CYCLE_1)
	v_cmp_eq_u32_e32 vcc_lo, 0, v9
	global_store_b32 v[4:5], v0, off
	s_and_b32 s7, exec_lo, vcc_lo
	s_mov_b32 exec_lo, s7
	s_cbranch_execz .LBB0_12
; %bb.16:                               ;   in Loop: Header=BB0_13 Depth=1
	s_bcnt1_i32_b32 s6, s6
	s_delay_alu instid0(SALU_CYCLE_1)
	v_mov_b32_e32 v4, s6
	global_atomic_add_u32 v8, v4, s[2:3]
	s_branch .LBB0_12
.LBB0_17:
	s_nop 0
	s_sendmsg sendmsg(MSG_DEALLOC_VGPRS)
	s_endpgm
	.section	.rodata,"a",@progbits
	.p2align	6, 0x0
	.amdhsa_kernel _Z8findTopKIfLi2048ELi256ELi64EEvPiS0_PKT_fimm
		.amdhsa_group_segment_fixed_size 8192
		.amdhsa_private_segment_fixed_size 0
		.amdhsa_kernarg_size 48
		.amdhsa_user_sgpr_count 14
		.amdhsa_user_sgpr_dispatch_ptr 0
		.amdhsa_user_sgpr_queue_ptr 0
		.amdhsa_user_sgpr_kernarg_segment_ptr 1
		.amdhsa_user_sgpr_dispatch_id 0
		.amdhsa_user_sgpr_private_segment_size 0
		.amdhsa_wavefront_size32 1
		.amdhsa_uses_dynamic_stack 0
		.amdhsa_enable_private_segment 0
		.amdhsa_system_sgpr_workgroup_id_x 1
		.amdhsa_system_sgpr_workgroup_id_y 1
		.amdhsa_system_sgpr_workgroup_id_z 0
		.amdhsa_system_sgpr_workgroup_info 0
		.amdhsa_system_vgpr_workitem_id 0
		.amdhsa_next_free_vgpr 53
		.amdhsa_next_free_sgpr 27
		.amdhsa_reserve_vcc 1
		.amdhsa_float_round_mode_32 0
		.amdhsa_float_round_mode_16_64 0
		.amdhsa_float_denorm_mode_32 3
		.amdhsa_float_denorm_mode_16_64 3
		.amdhsa_dx10_clamp 1
		.amdhsa_ieee_mode 1
		.amdhsa_fp16_overflow 0
		.amdhsa_workgroup_processor_mode 1
		.amdhsa_memory_ordered 1
		.amdhsa_forward_progress 0
		.amdhsa_shared_vgpr_count 0
		.amdhsa_exception_fp_ieee_invalid_op 0
		.amdhsa_exception_fp_denorm_src 0
		.amdhsa_exception_fp_ieee_div_zero 0
		.amdhsa_exception_fp_ieee_overflow 0
		.amdhsa_exception_fp_ieee_underflow 0
		.amdhsa_exception_fp_ieee_inexact 0
		.amdhsa_exception_int_div_zero 0
	.end_amdhsa_kernel
	.section	.text._Z8findTopKIfLi2048ELi256ELi64EEvPiS0_PKT_fimm,"axG",@progbits,_Z8findTopKIfLi2048ELi256ELi64EEvPiS0_PKT_fimm,comdat
.Lfunc_end0:
	.size	_Z8findTopKIfLi2048ELi256ELi64EEvPiS0_PKT_fimm, .Lfunc_end0-_Z8findTopKIfLi2048ELi256ELi64EEvPiS0_PKT_fimm
                                        ; -- End function
	.section	.AMDGPU.csdata,"",@progbits
; Kernel info:
; codeLenInByte = 6528
; NumSgprs: 29
; NumVgprs: 53
; ScratchSize: 0
; MemoryBound: 0
; FloatMode: 240
; IeeeMode: 1
; LDSByteSize: 8192 bytes/workgroup (compile time only)
; SGPRBlocks: 3
; VGPRBlocks: 6
; NumSGPRsForWavesPerEU: 29
; NumVGPRsForWavesPerEU: 53
; Occupancy: 16
; WaveLimiterHint : 0
; COMPUTE_PGM_RSRC2:SCRATCH_EN: 0
; COMPUTE_PGM_RSRC2:USER_SGPR: 14
; COMPUTE_PGM_RSRC2:TRAP_HANDLER: 0
; COMPUTE_PGM_RSRC2:TGID_X_EN: 1
; COMPUTE_PGM_RSRC2:TGID_Y_EN: 1
; COMPUTE_PGM_RSRC2:TGID_Z_EN: 0
; COMPUTE_PGM_RSRC2:TIDIG_COMP_CNT: 0
	.section	.text._Z8findTopKIfLi2048ELi256ELi32EEvPiS0_PKT_fimm,"axG",@progbits,_Z8findTopKIfLi2048ELi256ELi32EEvPiS0_PKT_fimm,comdat
	.protected	_Z8findTopKIfLi2048ELi256ELi32EEvPiS0_PKT_fimm ; -- Begin function _Z8findTopKIfLi2048ELi256ELi32EEvPiS0_PKT_fimm
	.globl	_Z8findTopKIfLi2048ELi256ELi32EEvPiS0_PKT_fimm
	.p2align	8
	.type	_Z8findTopKIfLi2048ELi256ELi32EEvPiS0_PKT_fimm,@function
_Z8findTopKIfLi2048ELi256ELi32EEvPiS0_PKT_fimm: ; @_Z8findTopKIfLi2048ELi256ELi32EEvPiS0_PKT_fimm
; %bb.0:
	s_clause 0x1
	s_load_b256 s[16:23], s[0:1], 0x10
	s_load_b128 s[8:11], s[0:1], 0x0
	v_dual_mov_b32 v1, 0 :: v_dual_lshlrev_b32 v2, 2, v0
	s_mov_b32 s2, s15
	v_lshlrev_b32_e32 v7, 2, v0
	s_mov_b32 s15, 0
	ds_store_2addr_stride64_b32 v2, v1, v1 offset1:4
	ds_store_2addr_stride64_b32 v2, v1, v1 offset0:8 offset1:12
	ds_store_2addr_stride64_b32 v2, v1, v1 offset0:16 offset1:20
	;; [unrolled: 1-line block ×3, first 2 shown]
	s_waitcnt lgkmcnt(0)
	s_barrier
	buffer_gl0_inv
	s_mul_i32 s1, s2, s21
	s_mul_hi_u32 s3, s2, s20
	s_mul_i32 s12, s2, s20
	v_cmp_gt_u64_e64 s0, s[22:23], v[0:1]
	s_add_i32 s13, s3, s1
	v_sub_f32_e64 v6, 1.0, s18
	s_add_u32 s24, s12, s14
	s_addc_u32 s25, s13, 0
	s_mul_hi_u32 s5, s22, s24
	s_mul_i32 s20, s23, s24
	s_mul_i32 s21, s22, s25
	;; [unrolled: 1-line block ×3, first 2 shown]
	s_and_saveexec_b32 s2, s0
	s_cbranch_execz .LBB1_6
; %bb.1:
	s_add_i32 s1, s5, s21
	v_dual_mov_b32 v8, 1 :: v_dual_mov_b32 v5, v1
	s_add_i32 s7, s1, s20
	v_mov_b32_e32 v4, v0
	s_lshl_b64 s[26:27], s[6:7], 2
	s_delay_alu instid0(SALU_CYCLE_1) | instskip(SKIP_2) | instid1(VALU_DEP_1)
	s_add_u32 s1, s16, s26
	s_addc_u32 s3, s17, s27
	v_add_co_u32 v2, s1, s1, v7
	v_add_co_ci_u32_e64 v3, null, s3, 0, s1
	s_mov_b32 s3, s15
	s_branch .LBB1_3
.LBB1_2:                                ;   in Loop: Header=BB1_3 Depth=1
	s_or_b32 exec_lo, exec_lo, s1
	v_add_co_u32 v4, vcc_lo, 0x100, v4
	v_add_co_ci_u32_e32 v5, vcc_lo, 0, v5, vcc_lo
	v_add_co_u32 v2, s1, 0x400, v2
	s_delay_alu instid0(VALU_DEP_1) | instskip(NEXT) | instid1(VALU_DEP_3)
	v_add_co_ci_u32_e64 v3, s1, 0, v3, s1
	v_cmp_le_u64_e32 vcc_lo, s[22:23], v[4:5]
	s_or_b32 s3, vcc_lo, s3
	s_delay_alu instid0(SALU_CYCLE_1)
	s_and_not1_b32 exec_lo, exec_lo, s3
	s_cbranch_execz .LBB1_6
.LBB1_3:                                ; =>This Inner Loop Header: Depth=1
	global_load_b32 v9, v[2:3], off
	s_mov_b32 s1, exec_lo
	s_waitcnt vmcnt(0)
	v_cmpx_lt_f32_e32 s18, v9
	s_cbranch_execz .LBB1_2
; %bb.4:                                ;   in Loop: Header=BB1_3 Depth=1
	v_subrev_f32_e32 v9, s18, v9
	s_delay_alu instid0(VALU_DEP_1) | instskip(NEXT) | instid1(VALU_DEP_1)
	v_div_scale_f32 v10, null, v6, v6, v9
	v_rcp_f32_e32 v11, v10
	s_waitcnt_depctr 0xfff
	v_fma_f32 v12, -v10, v11, 1.0
	s_delay_alu instid0(VALU_DEP_1) | instskip(SKIP_1) | instid1(VALU_DEP_1)
	v_fmac_f32_e32 v11, v12, v11
	v_div_scale_f32 v12, vcc_lo, v9, v6, v9
	v_mul_f32_e32 v13, v12, v11
	s_delay_alu instid0(VALU_DEP_1) | instskip(NEXT) | instid1(VALU_DEP_1)
	v_fma_f32 v14, -v10, v13, v12
	v_fmac_f32_e32 v13, v14, v11
	s_delay_alu instid0(VALU_DEP_1) | instskip(NEXT) | instid1(VALU_DEP_1)
	v_fma_f32 v10, -v10, v13, v12
	v_div_fmas_f32 v10, v10, v11, v13
	s_delay_alu instid0(VALU_DEP_1) | instskip(NEXT) | instid1(VALU_DEP_1)
	v_div_fixup_f32 v9, v10, v6, v9
	v_mul_f32_e32 v9, 0x45000000, v9
	s_delay_alu instid0(VALU_DEP_1) | instskip(NEXT) | instid1(VALU_DEP_1)
	v_cvt_i32_f32_e32 v9, v9
	v_cmp_lt_i32_e32 vcc_lo, 0, v9
	s_and_b32 exec_lo, exec_lo, vcc_lo
	s_cbranch_execz .LBB1_2
; %bb.5:                                ;   in Loop: Header=BB1_3 Depth=1
	v_min_u32_e32 v9, 0x7ff, v9
	s_delay_alu instid0(VALU_DEP_1)
	v_lshl_add_u32 v9, v9, 2, -4
	ds_add_u32 v9, v8
	s_branch .LBB1_2
.LBB1_6:
	s_or_b32 exec_lo, exec_lo, s2
	s_delay_alu instid0(SALU_CYCLE_1)
	s_mov_b32 s7, exec_lo
	s_waitcnt lgkmcnt(0)
	s_barrier
	buffer_gl0_inv
	v_cmpx_gt_u32_e32 32, v0
	s_cbranch_execz .LBB1_9
; %bb.7:
	v_mbcnt_lo_u32_b32 v9, -1, 0
	v_cmp_lt_u32_e64 s2, 27, v0
	v_cmp_lt_u32_e64 s3, 23, v0
	;; [unrolled: 1-line block ×3, first 2 shown]
	s_movk_i32 s26, 0x1e00
	v_cmp_gt_u32_e64 s1, 28, v9
	v_cmp_ne_u32_e32 vcc_lo, 31, v9
	s_delay_alu instid0(VALU_DEP_2) | instskip(SKIP_3) | instid1(VALU_DEP_4)
	v_cndmask_b32_e64 v5, 0, 1, s1
	v_cmp_gt_u32_e64 s1, 24, v9
	v_add_co_ci_u32_e32 v3, vcc_lo, 0, v9, vcc_lo
	v_cmp_gt_u32_e32 vcc_lo, 30, v9
	v_lshlrev_b32_e32 v5, 2, v5
	s_delay_alu instid0(VALU_DEP_4) | instskip(SKIP_3) | instid1(VALU_DEP_4)
	v_cndmask_b32_e64 v8, 0, 1, s1
	v_cmp_gt_u32_e64 s1, 16, v9
	v_dual_mov_b32 v2, 0 :: v_dual_lshlrev_b32 v3, 2, v3
	v_cndmask_b32_e64 v4, 0, 1, vcc_lo
	v_lshlrev_b32_e32 v8, 3, v8
	s_delay_alu instid0(VALU_DEP_4)
	v_cndmask_b32_e64 v10, 0, 1, s1
	v_cmp_eq_u32_e32 vcc_lo, 31, v0
	v_cmp_lt_u32_e64 s1, 29, v0
	v_lshlrev_b32_e32 v4, 1, v4
	v_add_lshl_u32 v5, v5, v9, 2
	v_lshlrev_b32_e32 v10, 4, v10
	v_add_lshl_u32 v8, v8, v9, 2
	s_delay_alu instid0(VALU_DEP_4) | instskip(NEXT) | instid1(VALU_DEP_3)
	v_add_lshl_u32 v4, v4, v9, 2
	v_add_lshl_u32 v9, v10, v9, 2
	v_mov_b32_e32 v10, 0
.LBB1_8:                                ; =>This Inner Loop Header: Depth=1
	v_add_nc_u32_e32 v14, s26, v7
	s_addk_i32 s26, 0xfe00
	s_delay_alu instid0(SALU_CYCLE_1)
	s_cmpk_lg_i32 s26, 0xfe00
	ds_load_2addr_b32 v[11:12], v14 offset0:64 offset1:96
	s_waitcnt lgkmcnt(0)
	ds_bpermute_b32 v13, v3, v12
	ds_bpermute_b32 v15, v3, v11
	s_waitcnt lgkmcnt(1)
	v_cndmask_b32_e64 v13, v13, 0, vcc_lo
	s_waitcnt lgkmcnt(0)
	v_cndmask_b32_e64 v15, v15, 0, vcc_lo
	s_delay_alu instid0(VALU_DEP_2)
	v_add_nc_u32_e32 v16, v13, v12
	ds_load_2addr_b32 v[12:13], v14 offset1:32
	v_add_nc_u32_e32 v11, v15, v11
	ds_bpermute_b32 v17, v4, v16
	s_waitcnt lgkmcnt(1)
	ds_bpermute_b32 v18, v3, v13
	ds_bpermute_b32 v19, v3, v12
	s_waitcnt lgkmcnt(2)
	v_cndmask_b32_e64 v15, v17, 0, s1
	ds_bpermute_b32 v17, v4, v11
	v_add_nc_u32_e32 v15, v15, v16
	ds_bpermute_b32 v16, v5, v15
	s_waitcnt lgkmcnt(3)
	v_cndmask_b32_e64 v18, v18, 0, vcc_lo
	s_waitcnt lgkmcnt(2)
	v_cndmask_b32_e64 v19, v19, 0, vcc_lo
	s_delay_alu instid0(VALU_DEP_2) | instskip(SKIP_2) | instid1(VALU_DEP_3)
	v_add_nc_u32_e32 v13, v18, v13
	s_waitcnt lgkmcnt(1)
	v_cndmask_b32_e64 v17, v17, 0, s1
	v_add_nc_u32_e32 v12, v19, v12
	ds_bpermute_b32 v18, v4, v13
	v_add_nc_u32_e32 v11, v17, v11
	ds_bpermute_b32 v19, v4, v12
	s_waitcnt lgkmcnt(2)
	v_cndmask_b32_e64 v16, v16, 0, s2
	ds_bpermute_b32 v17, v5, v11
	v_add_nc_u32_e32 v15, v16, v15
	ds_bpermute_b32 v16, v8, v15
	s_waitcnt lgkmcnt(3)
	v_cndmask_b32_e64 v18, v18, 0, s1
	s_waitcnt lgkmcnt(2)
	v_cndmask_b32_e64 v19, v19, 0, s1
	s_delay_alu instid0(VALU_DEP_2) | instskip(SKIP_2) | instid1(VALU_DEP_3)
	v_add_nc_u32_e32 v13, v18, v13
	s_waitcnt lgkmcnt(1)
	v_cndmask_b32_e64 v17, v17, 0, s2
	v_add_nc_u32_e32 v12, v19, v12
	ds_bpermute_b32 v18, v5, v13
	v_add_nc_u32_e32 v11, v17, v11
	ds_bpermute_b32 v19, v5, v12
	s_waitcnt lgkmcnt(2)
	v_cndmask_b32_e64 v16, v16, 0, s3
	ds_bpermute_b32 v17, v8, v11
	v_add_nc_u32_e32 v15, v16, v15
	ds_bpermute_b32 v16, v9, v15
	s_waitcnt lgkmcnt(3)
	v_cndmask_b32_e64 v18, v18, 0, s2
	s_delay_alu instid0(VALU_DEP_1)
	v_add_nc_u32_e32 v13, v18, v13
	s_waitcnt lgkmcnt(1)
	v_cndmask_b32_e64 v17, v17, 0, s3
	ds_bpermute_b32 v18, v8, v13
	v_add_nc_u32_e32 v11, v17, v11
	s_waitcnt lgkmcnt(1)
	v_cndmask_b32_e64 v16, v16, 0, s4
	ds_bpermute_b32 v17, v9, v11
	v_add3_u32 v15, v16, v15, v10
	v_cndmask_b32_e64 v16, v19, 0, s2
	ds_bpermute_b32 v10, v2, v15
	v_add_nc_u32_e32 v12, v16, v12
	s_waitcnt lgkmcnt(2)
	v_cndmask_b32_e64 v16, v18, 0, s3
	ds_bpermute_b32 v18, v8, v12
	v_add_nc_u32_e32 v13, v16, v13
	s_waitcnt lgkmcnt(2)
	v_cndmask_b32_e64 v16, v17, 0, s4
	ds_bpermute_b32 v17, v9, v13
	s_waitcnt lgkmcnt(2)
	v_add3_u32 v11, v16, v11, v10
	ds_bpermute_b32 v10, v2, v11
	s_waitcnt lgkmcnt(2)
	v_cndmask_b32_e64 v16, v18, 0, s3
	s_delay_alu instid0(VALU_DEP_1)
	v_add_nc_u32_e32 v12, v16, v12
	s_waitcnt lgkmcnt(1)
	v_cndmask_b32_e64 v16, v17, 0, s4
	ds_bpermute_b32 v17, v9, v12
	s_waitcnt lgkmcnt(1)
	v_add3_u32 v13, v16, v13, v10
	ds_bpermute_b32 v10, v2, v13
	s_waitcnt lgkmcnt(1)
	v_cndmask_b32_e64 v16, v17, 0, s4
	s_waitcnt lgkmcnt(0)
	s_delay_alu instid0(VALU_DEP_1)
	v_add3_u32 v12, v16, v12, v10
	ds_store_2addr_b32 v14, v11, v15 offset0:64 offset1:96
	ds_store_2addr_b32 v14, v12, v13 offset1:32
	ds_bpermute_b32 v10, v2, v12
	s_cbranch_scc1 .LBB1_8
.LBB1_9:
	s_or_b32 exec_lo, exec_lo, s7
	s_lshl_b64 s[2:3], s[12:13], 2
	s_delay_alu instid0(SALU_CYCLE_1) | instskip(SKIP_2) | instid1(SALU_CYCLE_1)
	s_add_u32 s1, s10, s2
	s_addc_u32 s4, s11, s3
	s_lshl_b64 s[2:3], s[14:15], 2
	s_add_u32 s2, s1, s2
	s_addc_u32 s3, s4, s3
	s_mov_b32 s1, exec_lo
	v_cmpx_eq_u32_e32 0, v0
	s_cbranch_execz .LBB1_11
; %bb.10:
	v_mov_b32_e32 v2, 0
	global_store_b32 v2, v2, s[2:3]
.LBB1_11:
	s_or_b32 exec_lo, exec_lo, s1
	s_waitcnt lgkmcnt(0)
	s_waitcnt_vscnt null, 0x0
	s_barrier
	buffer_gl0_inv
	s_and_saveexec_b32 s1, s0
	s_cbranch_execz .LBB1_18
; %bb.12:
	s_ashr_i32 s0, s19, 31
	s_mul_hi_u32 s1, s24, s19
	s_mul_i32 s0, s24, s0
	s_mul_i32 s25, s25, s19
	s_add_i32 s1, s1, s0
	s_mul_i32 s0, s24, s19
	s_add_i32 s1, s1, s25
	v_mov_b32_e32 v8, 0
	s_lshl_b64 s[10:11], s[0:1], 2
	s_delay_alu instid0(SALU_CYCLE_1) | instskip(SKIP_2) | instid1(SALU_CYCLE_1)
	s_add_u32 s1, s8, s10
	s_addc_u32 s4, s9, s11
	s_add_i32 s0, s5, s21
	s_add_i32 s7, s0, s20
	s_delay_alu instid0(SALU_CYCLE_1) | instskip(NEXT) | instid1(SALU_CYCLE_1)
	s_lshl_b64 s[6:7], s[6:7], 2
	s_add_u32 s0, s16, s6
	s_addc_u32 s5, s17, s7
	v_add_co_u32 v2, s0, s0, v7
	v_mov_b32_e32 v7, 1
	v_add_co_ci_u32_e64 v3, null, s5, 0, s0
	s_mov_b32 s5, 0
	s_branch .LBB1_14
.LBB1_13:                               ;   in Loop: Header=BB1_14 Depth=1
	s_or_b32 exec_lo, exec_lo, s0
	v_add_co_u32 v0, vcc_lo, 0x100, v0
	v_add_co_ci_u32_e32 v1, vcc_lo, 0, v1, vcc_lo
	v_add_co_u32 v2, s0, 0x400, v2
	s_delay_alu instid0(VALU_DEP_1) | instskip(NEXT) | instid1(VALU_DEP_3)
	v_add_co_ci_u32_e64 v3, s0, 0, v3, s0
	v_cmp_le_u64_e32 vcc_lo, s[22:23], v[0:1]
	s_or_b32 s5, vcc_lo, s5
	s_delay_alu instid0(SALU_CYCLE_1)
	s_and_not1_b32 exec_lo, exec_lo, s5
	s_cbranch_execz .LBB1_18
.LBB1_14:                               ; =>This Inner Loop Header: Depth=1
	global_load_b32 v4, v[2:3], off
	s_mov_b32 s0, exec_lo
	s_waitcnt vmcnt(0)
	v_cmpx_lt_f32_e32 s18, v4
	s_cbranch_execz .LBB1_13
; %bb.15:                               ;   in Loop: Header=BB1_14 Depth=1
	v_subrev_f32_e32 v4, s18, v4
	s_delay_alu instid0(VALU_DEP_1) | instskip(NEXT) | instid1(VALU_DEP_1)
	v_div_scale_f32 v5, null, v6, v6, v4
	v_rcp_f32_e32 v9, v5
	s_waitcnt_depctr 0xfff
	v_fma_f32 v10, -v5, v9, 1.0
	s_delay_alu instid0(VALU_DEP_1) | instskip(SKIP_1) | instid1(VALU_DEP_1)
	v_fmac_f32_e32 v9, v10, v9
	v_div_scale_f32 v10, vcc_lo, v4, v6, v4
	v_mul_f32_e32 v11, v10, v9
	s_delay_alu instid0(VALU_DEP_1) | instskip(NEXT) | instid1(VALU_DEP_1)
	v_fma_f32 v12, -v5, v11, v10
	v_fmac_f32_e32 v11, v12, v9
	s_delay_alu instid0(VALU_DEP_1) | instskip(NEXT) | instid1(VALU_DEP_1)
	v_fma_f32 v5, -v5, v11, v10
	v_div_fmas_f32 v5, v5, v9, v11
	s_delay_alu instid0(VALU_DEP_1) | instskip(NEXT) | instid1(VALU_DEP_1)
	v_div_fixup_f32 v4, v5, v6, v4
	v_mul_f32_e32 v4, 0x45000000, v4
	s_delay_alu instid0(VALU_DEP_1) | instskip(NEXT) | instid1(VALU_DEP_1)
	v_cvt_i32_f32_e32 v4, v4
	v_med3_i32 v4, v4, 0, 0x7ff
	s_delay_alu instid0(VALU_DEP_1)
	v_lshlrev_b32_e32 v4, 2, v4
	ds_add_rtn_u32 v4, v4, v7
	s_waitcnt lgkmcnt(0)
	v_cmp_gt_i32_e32 vcc_lo, s19, v4
	s_and_b32 exec_lo, exec_lo, vcc_lo
	s_cbranch_execz .LBB1_13
; %bb.16:                               ;   in Loop: Header=BB1_14 Depth=1
	v_ashrrev_i32_e32 v5, 31, v4
	s_mov_b32 s6, exec_lo
	s_delay_alu instid0(SALU_CYCLE_1) | instskip(NEXT) | instid1(VALU_DEP_2)
	v_mbcnt_lo_u32_b32 v9, s6, 0
	v_lshlrev_b64 v[4:5], 2, v[4:5]
	s_delay_alu instid0(VALU_DEP_1) | instskip(NEXT) | instid1(VALU_DEP_2)
	v_add_co_u32 v4, vcc_lo, s1, v4
	v_add_co_ci_u32_e32 v5, vcc_lo, s4, v5, vcc_lo
	s_delay_alu instid0(VALU_DEP_4) | instskip(SKIP_2) | instid1(SALU_CYCLE_1)
	v_cmp_eq_u32_e32 vcc_lo, 0, v9
	global_store_b32 v[4:5], v0, off
	s_and_b32 s7, exec_lo, vcc_lo
	s_mov_b32 exec_lo, s7
	s_cbranch_execz .LBB1_13
; %bb.17:                               ;   in Loop: Header=BB1_14 Depth=1
	s_bcnt1_i32_b32 s6, s6
	s_delay_alu instid0(SALU_CYCLE_1)
	v_mov_b32_e32 v4, s6
	global_atomic_add_u32 v8, v4, s[2:3]
	s_branch .LBB1_13
.LBB1_18:
	s_nop 0
	s_sendmsg sendmsg(MSG_DEALLOC_VGPRS)
	s_endpgm
	.section	.rodata,"a",@progbits
	.p2align	6, 0x0
	.amdhsa_kernel _Z8findTopKIfLi2048ELi256ELi32EEvPiS0_PKT_fimm
		.amdhsa_group_segment_fixed_size 8192
		.amdhsa_private_segment_fixed_size 0
		.amdhsa_kernarg_size 48
		.amdhsa_user_sgpr_count 14
		.amdhsa_user_sgpr_dispatch_ptr 0
		.amdhsa_user_sgpr_queue_ptr 0
		.amdhsa_user_sgpr_kernarg_segment_ptr 1
		.amdhsa_user_sgpr_dispatch_id 0
		.amdhsa_user_sgpr_private_segment_size 0
		.amdhsa_wavefront_size32 1
		.amdhsa_uses_dynamic_stack 0
		.amdhsa_enable_private_segment 0
		.amdhsa_system_sgpr_workgroup_id_x 1
		.amdhsa_system_sgpr_workgroup_id_y 1
		.amdhsa_system_sgpr_workgroup_id_z 0
		.amdhsa_system_sgpr_workgroup_info 0
		.amdhsa_system_vgpr_workitem_id 0
		.amdhsa_next_free_vgpr 20
		.amdhsa_next_free_sgpr 28
		.amdhsa_reserve_vcc 1
		.amdhsa_float_round_mode_32 0
		.amdhsa_float_round_mode_16_64 0
		.amdhsa_float_denorm_mode_32 3
		.amdhsa_float_denorm_mode_16_64 3
		.amdhsa_dx10_clamp 1
		.amdhsa_ieee_mode 1
		.amdhsa_fp16_overflow 0
		.amdhsa_workgroup_processor_mode 1
		.amdhsa_memory_ordered 1
		.amdhsa_forward_progress 0
		.amdhsa_shared_vgpr_count 0
		.amdhsa_exception_fp_ieee_invalid_op 0
		.amdhsa_exception_fp_denorm_src 0
		.amdhsa_exception_fp_ieee_div_zero 0
		.amdhsa_exception_fp_ieee_overflow 0
		.amdhsa_exception_fp_ieee_underflow 0
		.amdhsa_exception_fp_ieee_inexact 0
		.amdhsa_exception_int_div_zero 0
	.end_amdhsa_kernel
	.section	.text._Z8findTopKIfLi2048ELi256ELi32EEvPiS0_PKT_fimm,"axG",@progbits,_Z8findTopKIfLi2048ELi256ELi32EEvPiS0_PKT_fimm,comdat
.Lfunc_end1:
	.size	_Z8findTopKIfLi2048ELi256ELi32EEvPiS0_PKT_fimm, .Lfunc_end1-_Z8findTopKIfLi2048ELi256ELi32EEvPiS0_PKT_fimm
                                        ; -- End function
	.section	.AMDGPU.csdata,"",@progbits
; Kernel info:
; codeLenInByte = 1852
; NumSgprs: 30
; NumVgprs: 20
; ScratchSize: 0
; MemoryBound: 0
; FloatMode: 240
; IeeeMode: 1
; LDSByteSize: 8192 bytes/workgroup (compile time only)
; SGPRBlocks: 3
; VGPRBlocks: 2
; NumSGPRsForWavesPerEU: 30
; NumVGPRsForWavesPerEU: 20
; Occupancy: 16
; WaveLimiterHint : 0
; COMPUTE_PGM_RSRC2:SCRATCH_EN: 0
; COMPUTE_PGM_RSRC2:USER_SGPR: 14
; COMPUTE_PGM_RSRC2:TRAP_HANDLER: 0
; COMPUTE_PGM_RSRC2:TGID_X_EN: 1
; COMPUTE_PGM_RSRC2:TGID_Y_EN: 1
; COMPUTE_PGM_RSRC2:TGID_Z_EN: 0
; COMPUTE_PGM_RSRC2:TIDIG_COMP_CNT: 0
	.text
	.p2alignl 7, 3214868480
	.fill 96, 4, 3214868480
	.type	__hip_cuid_b104c9c9e5ea11ed,@object ; @__hip_cuid_b104c9c9e5ea11ed
	.section	.bss,"aw",@nobits
	.globl	__hip_cuid_b104c9c9e5ea11ed
__hip_cuid_b104c9c9e5ea11ed:
	.byte	0                               ; 0x0
	.size	__hip_cuid_b104c9c9e5ea11ed, 1

	.ident	"AMD clang version 19.0.0git (https://github.com/RadeonOpenCompute/llvm-project roc-6.4.0 25133 c7fe45cf4b819c5991fe208aaa96edf142730f1d)"
	.section	".note.GNU-stack","",@progbits
	.addrsig
	.addrsig_sym __hip_cuid_b104c9c9e5ea11ed
	.amdgpu_metadata
---
amdhsa.kernels:
  - .args:
      - .actual_access:  write_only
        .address_space:  global
        .offset:         0
        .size:           8
        .value_kind:     global_buffer
      - .address_space:  global
        .offset:         8
        .size:           8
        .value_kind:     global_buffer
      - .actual_access:  read_only
        .address_space:  global
        .offset:         16
        .size:           8
        .value_kind:     global_buffer
      - .offset:         24
        .size:           4
        .value_kind:     by_value
      - .offset:         28
        .size:           4
        .value_kind:     by_value
      - .offset:         32
        .size:           8
        .value_kind:     by_value
      - .offset:         40
        .size:           8
        .value_kind:     by_value
    .group_segment_fixed_size: 8192
    .kernarg_segment_align: 8
    .kernarg_segment_size: 48
    .language:       OpenCL C
    .language_version:
      - 2
      - 0
    .max_flat_workgroup_size: 256
    .name:           _Z8findTopKIfLi2048ELi256ELi64EEvPiS0_PKT_fimm
    .private_segment_fixed_size: 0
    .sgpr_count:     29
    .sgpr_spill_count: 0
    .symbol:         _Z8findTopKIfLi2048ELi256ELi64EEvPiS0_PKT_fimm.kd
    .uniform_work_group_size: 1
    .uses_dynamic_stack: false
    .vgpr_count:     53
    .vgpr_spill_count: 0
    .wavefront_size: 32
    .workgroup_processor_mode: 1
  - .args:
      - .actual_access:  write_only
        .address_space:  global
        .offset:         0
        .size:           8
        .value_kind:     global_buffer
      - .address_space:  global
        .offset:         8
        .size:           8
        .value_kind:     global_buffer
      - .actual_access:  read_only
        .address_space:  global
        .offset:         16
        .size:           8
        .value_kind:     global_buffer
      - .offset:         24
        .size:           4
        .value_kind:     by_value
      - .offset:         28
        .size:           4
        .value_kind:     by_value
      - .offset:         32
        .size:           8
        .value_kind:     by_value
      - .offset:         40
        .size:           8
        .value_kind:     by_value
    .group_segment_fixed_size: 8192
    .kernarg_segment_align: 8
    .kernarg_segment_size: 48
    .language:       OpenCL C
    .language_version:
      - 2
      - 0
    .max_flat_workgroup_size: 256
    .name:           _Z8findTopKIfLi2048ELi256ELi32EEvPiS0_PKT_fimm
    .private_segment_fixed_size: 0
    .sgpr_count:     30
    .sgpr_spill_count: 0
    .symbol:         _Z8findTopKIfLi2048ELi256ELi32EEvPiS0_PKT_fimm.kd
    .uniform_work_group_size: 1
    .uses_dynamic_stack: false
    .vgpr_count:     20
    .vgpr_spill_count: 0
    .wavefront_size: 32
    .workgroup_processor_mode: 1
amdhsa.target:   amdgcn-amd-amdhsa--gfx1100
amdhsa.version:
  - 1
  - 2
...

	.end_amdgpu_metadata
